;; amdgpu-corpus repo=ROCm/rocFFT kind=compiled arch=gfx906 opt=O3
	.text
	.amdgcn_target "amdgcn-amd-amdhsa--gfx906"
	.amdhsa_code_object_version 6
	.protected	fft_rtc_fwd_len650_factors_10_5_13_wgs_195_tpt_65_half_ip_CI_unitstride_sbrr_R2C_dirReg ; -- Begin function fft_rtc_fwd_len650_factors_10_5_13_wgs_195_tpt_65_half_ip_CI_unitstride_sbrr_R2C_dirReg
	.globl	fft_rtc_fwd_len650_factors_10_5_13_wgs_195_tpt_65_half_ip_CI_unitstride_sbrr_R2C_dirReg
	.p2align	8
	.type	fft_rtc_fwd_len650_factors_10_5_13_wgs_195_tpt_65_half_ip_CI_unitstride_sbrr_R2C_dirReg,@function
fft_rtc_fwd_len650_factors_10_5_13_wgs_195_tpt_65_half_ip_CI_unitstride_sbrr_R2C_dirReg: ; @fft_rtc_fwd_len650_factors_10_5_13_wgs_195_tpt_65_half_ip_CI_unitstride_sbrr_R2C_dirReg
; %bb.0:
	s_load_dwordx2 s[2:3], s[4:5], 0x50
	s_load_dwordx4 s[8:11], s[4:5], 0x0
	s_load_dwordx2 s[12:13], s[4:5], 0x18
	v_mul_u32_u24_e32 v1, 0x3f1, v0
	v_lshrrev_b32_e32 v1, 16, v1
	v_mad_u64_u32 v[1:2], s[0:1], s6, 3, v[1:2]
	v_mov_b32_e32 v5, 0
	s_waitcnt lgkmcnt(0)
	v_cmp_lt_u64_e64 s[0:1], s[10:11], 2
	v_mov_b32_e32 v2, v5
	v_mov_b32_e32 v3, 0
	;; [unrolled: 1-line block ×3, first 2 shown]
	s_and_b64 vcc, exec, s[0:1]
	v_mov_b32_e32 v4, 0
	v_mov_b32_e32 v9, v1
	s_cbranch_vccnz .LBB0_8
; %bb.1:
	s_load_dwordx2 s[0:1], s[4:5], 0x10
	s_add_u32 s6, s12, 8
	s_addc_u32 s7, s13, 0
	v_mov_b32_e32 v3, 0
	v_mov_b32_e32 v8, v2
	s_waitcnt lgkmcnt(0)
	s_add_u32 s16, s0, 8
	s_mov_b64 s[14:15], 1
	v_mov_b32_e32 v4, 0
	s_addc_u32 s17, s1, 0
	v_mov_b32_e32 v7, v1
.LBB0_2:                                ; =>This Inner Loop Header: Depth=1
	s_load_dwordx2 s[18:19], s[16:17], 0x0
                                        ; implicit-def: $vgpr9_vgpr10
	s_waitcnt lgkmcnt(0)
	v_or_b32_e32 v6, s19, v8
	v_cmp_ne_u64_e32 vcc, 0, v[5:6]
	s_and_saveexec_b64 s[0:1], vcc
	s_xor_b64 s[20:21], exec, s[0:1]
	s_cbranch_execz .LBB0_4
; %bb.3:                                ;   in Loop: Header=BB0_2 Depth=1
	v_cvt_f32_u32_e32 v2, s18
	v_cvt_f32_u32_e32 v6, s19
	s_sub_u32 s0, 0, s18
	s_subb_u32 s1, 0, s19
	v_mac_f32_e32 v2, 0x4f800000, v6
	v_rcp_f32_e32 v2, v2
	v_mul_f32_e32 v2, 0x5f7ffffc, v2
	v_mul_f32_e32 v6, 0x2f800000, v2
	v_trunc_f32_e32 v6, v6
	v_mac_f32_e32 v2, 0xcf800000, v6
	v_cvt_u32_f32_e32 v6, v6
	v_cvt_u32_f32_e32 v2, v2
	v_mul_lo_u32 v9, s0, v6
	v_mul_hi_u32 v10, s0, v2
	v_mul_lo_u32 v12, s1, v2
	v_mul_lo_u32 v11, s0, v2
	v_add_u32_e32 v9, v10, v9
	v_add_u32_e32 v9, v9, v12
	v_mul_hi_u32 v10, v2, v11
	v_mul_lo_u32 v12, v2, v9
	v_mul_hi_u32 v14, v2, v9
	v_mul_hi_u32 v13, v6, v11
	v_mul_lo_u32 v11, v6, v11
	v_mul_hi_u32 v15, v6, v9
	v_add_co_u32_e32 v10, vcc, v10, v12
	v_addc_co_u32_e32 v12, vcc, 0, v14, vcc
	v_mul_lo_u32 v9, v6, v9
	v_add_co_u32_e32 v10, vcc, v10, v11
	v_addc_co_u32_e32 v10, vcc, v12, v13, vcc
	v_addc_co_u32_e32 v11, vcc, 0, v15, vcc
	v_add_co_u32_e32 v9, vcc, v10, v9
	v_addc_co_u32_e32 v10, vcc, 0, v11, vcc
	v_add_co_u32_e32 v2, vcc, v2, v9
	v_addc_co_u32_e32 v6, vcc, v6, v10, vcc
	v_mul_lo_u32 v9, s0, v6
	v_mul_hi_u32 v10, s0, v2
	v_mul_lo_u32 v11, s1, v2
	v_mul_lo_u32 v12, s0, v2
	v_add_u32_e32 v9, v10, v9
	v_add_u32_e32 v9, v9, v11
	v_mul_lo_u32 v13, v2, v9
	v_mul_hi_u32 v14, v2, v12
	v_mul_hi_u32 v15, v2, v9
	;; [unrolled: 1-line block ×3, first 2 shown]
	v_mul_lo_u32 v12, v6, v12
	v_mul_hi_u32 v10, v6, v9
	v_add_co_u32_e32 v13, vcc, v14, v13
	v_addc_co_u32_e32 v14, vcc, 0, v15, vcc
	v_mul_lo_u32 v9, v6, v9
	v_add_co_u32_e32 v12, vcc, v13, v12
	v_addc_co_u32_e32 v11, vcc, v14, v11, vcc
	v_addc_co_u32_e32 v10, vcc, 0, v10, vcc
	v_add_co_u32_e32 v9, vcc, v11, v9
	v_addc_co_u32_e32 v10, vcc, 0, v10, vcc
	v_add_co_u32_e32 v2, vcc, v2, v9
	v_addc_co_u32_e32 v6, vcc, v6, v10, vcc
	v_mad_u64_u32 v[9:10], s[0:1], v7, v6, 0
	v_mul_hi_u32 v11, v7, v2
	v_add_co_u32_e32 v13, vcc, v11, v9
	v_addc_co_u32_e32 v14, vcc, 0, v10, vcc
	v_mad_u64_u32 v[9:10], s[0:1], v8, v2, 0
	v_mad_u64_u32 v[11:12], s[0:1], v8, v6, 0
	v_add_co_u32_e32 v2, vcc, v13, v9
	v_addc_co_u32_e32 v2, vcc, v14, v10, vcc
	v_addc_co_u32_e32 v6, vcc, 0, v12, vcc
	v_add_co_u32_e32 v2, vcc, v2, v11
	v_addc_co_u32_e32 v6, vcc, 0, v6, vcc
	v_mul_lo_u32 v11, s19, v2
	v_mul_lo_u32 v12, s18, v6
	v_mad_u64_u32 v[9:10], s[0:1], s18, v2, 0
	v_add3_u32 v10, v10, v12, v11
	v_sub_u32_e32 v11, v8, v10
	v_mov_b32_e32 v12, s19
	v_sub_co_u32_e32 v9, vcc, v7, v9
	v_subb_co_u32_e64 v11, s[0:1], v11, v12, vcc
	v_subrev_co_u32_e64 v12, s[0:1], s18, v9
	v_subbrev_co_u32_e64 v11, s[0:1], 0, v11, s[0:1]
	v_cmp_le_u32_e64 s[0:1], s19, v11
	v_cndmask_b32_e64 v13, 0, -1, s[0:1]
	v_cmp_le_u32_e64 s[0:1], s18, v12
	v_cndmask_b32_e64 v12, 0, -1, s[0:1]
	v_cmp_eq_u32_e64 s[0:1], s19, v11
	v_cndmask_b32_e64 v11, v13, v12, s[0:1]
	v_add_co_u32_e64 v12, s[0:1], 2, v2
	v_addc_co_u32_e64 v13, s[0:1], 0, v6, s[0:1]
	v_add_co_u32_e64 v14, s[0:1], 1, v2
	v_addc_co_u32_e64 v15, s[0:1], 0, v6, s[0:1]
	v_subb_co_u32_e32 v10, vcc, v8, v10, vcc
	v_cmp_ne_u32_e64 s[0:1], 0, v11
	v_cmp_le_u32_e32 vcc, s19, v10
	v_cndmask_b32_e64 v11, v15, v13, s[0:1]
	v_cndmask_b32_e64 v13, 0, -1, vcc
	v_cmp_le_u32_e32 vcc, s18, v9
	v_cndmask_b32_e64 v9, 0, -1, vcc
	v_cmp_eq_u32_e32 vcc, s19, v10
	v_cndmask_b32_e32 v9, v13, v9, vcc
	v_cmp_ne_u32_e32 vcc, 0, v9
	v_cndmask_b32_e32 v10, v6, v11, vcc
	v_cndmask_b32_e64 v6, v14, v12, s[0:1]
	v_cndmask_b32_e32 v9, v2, v6, vcc
.LBB0_4:                                ;   in Loop: Header=BB0_2 Depth=1
	s_andn2_saveexec_b64 s[0:1], s[20:21]
	s_cbranch_execz .LBB0_6
; %bb.5:                                ;   in Loop: Header=BB0_2 Depth=1
	v_cvt_f32_u32_e32 v2, s18
	s_sub_i32 s20, 0, s18
	v_rcp_iflag_f32_e32 v2, v2
	v_mul_f32_e32 v2, 0x4f7ffffe, v2
	v_cvt_u32_f32_e32 v2, v2
	v_mul_lo_u32 v6, s20, v2
	v_mul_hi_u32 v6, v2, v6
	v_add_u32_e32 v2, v2, v6
	v_mul_hi_u32 v2, v7, v2
	v_mul_lo_u32 v6, v2, s18
	v_add_u32_e32 v9, 1, v2
	v_sub_u32_e32 v6, v7, v6
	v_subrev_u32_e32 v10, s18, v6
	v_cmp_le_u32_e32 vcc, s18, v6
	v_cndmask_b32_e32 v6, v6, v10, vcc
	v_cndmask_b32_e32 v2, v2, v9, vcc
	v_add_u32_e32 v9, 1, v2
	v_cmp_le_u32_e32 vcc, s18, v6
	v_cndmask_b32_e32 v9, v2, v9, vcc
	v_mov_b32_e32 v10, v5
.LBB0_6:                                ;   in Loop: Header=BB0_2 Depth=1
	s_or_b64 exec, exec, s[0:1]
	v_mul_lo_u32 v2, v10, s18
	v_mul_lo_u32 v6, v9, s19
	v_mad_u64_u32 v[11:12], s[0:1], v9, s18, 0
	s_load_dwordx2 s[0:1], s[6:7], 0x0
	s_add_u32 s14, s14, 1
	v_add3_u32 v2, v12, v6, v2
	v_sub_co_u32_e32 v6, vcc, v7, v11
	v_subb_co_u32_e32 v2, vcc, v8, v2, vcc
	s_waitcnt lgkmcnt(0)
	v_mul_lo_u32 v2, s0, v2
	v_mul_lo_u32 v7, s1, v6
	v_mad_u64_u32 v[3:4], s[0:1], s0, v6, v[3:4]
	s_addc_u32 s15, s15, 0
	s_add_u32 s6, s6, 8
	v_add3_u32 v4, v7, v4, v2
	v_mov_b32_e32 v6, s10
	v_mov_b32_e32 v7, s11
	s_addc_u32 s7, s7, 0
	v_cmp_ge_u64_e32 vcc, s[14:15], v[6:7]
	s_add_u32 s16, s16, 8
	s_addc_u32 s17, s17, 0
	s_cbranch_vccnz .LBB0_8
; %bb.7:                                ;   in Loop: Header=BB0_2 Depth=1
	v_mov_b32_e32 v7, v9
	v_mov_b32_e32 v8, v10
	s_branch .LBB0_2
.LBB0_8:
	s_lshl_b64 s[0:1], s[10:11], 3
	s_add_u32 s0, s12, s0
	s_addc_u32 s1, s13, s1
	s_load_dwordx2 s[0:1], s[0:1], 0x0
	s_mov_b32 s6, 0xaaaaaaab
	v_mul_hi_u32 v5, v1, s6
	s_waitcnt lgkmcnt(0)
	v_mul_lo_u32 v6, s0, v10
	v_mul_lo_u32 v7, s1, v9
	v_mad_u64_u32 v[2:3], s[0:1], s0, v9, v[3:4]
	s_load_dwordx2 s[0:1], s[4:5], 0x20
	s_mov_b32 s4, 0x3f03f04
	v_lshrrev_b32_e32 v4, 1, v5
	v_mul_hi_u32 v5, v0, s4
	v_lshl_add_u32 v4, v4, 1, v4
	v_sub_u32_e32 v1, v1, v4
	s_waitcnt lgkmcnt(0)
	v_cmp_gt_u64_e32 vcc, s[0:1], v[9:10]
	v_cmp_le_u64_e64 s[0:1], s[0:1], v[9:10]
	v_mul_u32_u24_e32 v4, 0x41, v5
	v_add3_u32 v3, v7, v3, v6
	v_sub_u32_e32 v0, v0, v4
                                        ; implicit-def: $vgpr4
	s_and_saveexec_b64 s[4:5], s[0:1]
	s_xor_b64 s[0:1], exec, s[4:5]
; %bb.9:
	v_add_u32_e32 v4, 0x41, v0
; %bb.10:
	s_or_saveexec_b64 s[4:5], s[0:1]
	v_mul_u32_u24_e32 v1, 0x28b, v1
	v_lshlrev_b64 v[2:3], 2, v[2:3]
	v_lshlrev_b32_e32 v11, 2, v1
	v_lshlrev_b32_e32 v18, 2, v0
	s_xor_b64 exec, exec, s[4:5]
	s_cbranch_execz .LBB0_12
; %bb.11:
	v_mov_b32_e32 v1, 0
	v_mov_b32_e32 v4, s3
	v_add_co_u32_e64 v6, s[0:1], s2, v2
	v_addc_co_u32_e64 v7, s[0:1], v4, v3, s[0:1]
	v_lshlrev_b64 v[4:5], 2, v[0:1]
	v_add_co_u32_e64 v4, s[0:1], v6, v4
	v_addc_co_u32_e64 v5, s[0:1], v7, v5, s[0:1]
	global_load_dword v1, v[4:5], off
	global_load_dword v6, v[4:5], off offset:260
	global_load_dword v7, v[4:5], off offset:520
	;; [unrolled: 1-line block ×9, first 2 shown]
	v_add3_u32 v5, 0, v11, v18
	v_add_u32_e32 v4, 0x41, v0
	v_add_u32_e32 v16, 0x400, v5
	;; [unrolled: 1-line block ×3, first 2 shown]
	s_waitcnt vmcnt(8)
	ds_write2_b32 v5, v1, v6 offset1:65
	s_waitcnt vmcnt(6)
	ds_write2_b32 v5, v7, v8 offset0:130 offset1:195
	s_waitcnt vmcnt(4)
	ds_write2_b32 v16, v9, v10 offset0:4 offset1:69
	;; [unrolled: 2-line block ×4, first 2 shown]
.LBB0_12:
	s_or_b64 exec, exec, s[4:5]
	v_add3_u32 v1, 0, v18, v11
	v_add_u32_e32 v14, 0x400, v1
	v_add_u32_e32 v9, 0x600, v1
	s_waitcnt lgkmcnt(0)
	s_barrier
	ds_read2_b32 v[5:6], v1 offset0:65 offset1:130
	v_add_u32_e32 v22, 0x200, v1
	ds_read2_b32 v[7:8], v14 offset0:69 offset1:134
	ds_read2_b32 v[9:10], v9 offset0:71 offset1:136
	;; [unrolled: 1-line block ×3, first 2 shown]
	v_add_u32_e32 v19, 0, v11
	ds_read_b32 v21, v1 offset:2340
	v_add_u32_e32 v17, v19, v18
	ds_read_b32 v23, v17
	s_waitcnt lgkmcnt(3)
	v_sub_f16_e32 v15, v10, v8
	s_waitcnt lgkmcnt(2)
	v_sub_f16_e32 v16, v6, v13
	v_add_f16_e32 v15, v16, v15
	v_sub_f16_sdwa v16, v6, v13 dst_sel:DWORD dst_unused:UNUSED_PAD src0_sel:WORD_1 src1_sel:WORD_1
	v_sub_f16_sdwa v20, v10, v8 dst_sel:DWORD dst_unused:UNUSED_PAD src0_sel:WORD_1 src1_sel:WORD_1
	v_add_f16_e32 v16, v16, v20
	s_waitcnt lgkmcnt(1)
	v_sub_f16_e32 v20, v21, v9
	v_sub_f16_e32 v24, v12, v7
	v_add_f16_e32 v20, v24, v20
	s_waitcnt lgkmcnt(0)
	v_pk_add_f16 v24, v23, v6
	v_pk_add_f16 v25, v5, v12
	v_pk_add_f16 v24, v24, v13
	v_pk_add_f16 v25, v25, v7
	v_pk_add_f16 v24, v24, v8
	v_add_f16_e32 v26, v13, v8
	v_sub_f16_sdwa v27, v13, v8 dst_sel:DWORD dst_unused:UNUSED_PAD src0_sel:WORD_1 src1_sel:WORD_1
	v_add_f16_sdwa v29, v13, v8 dst_sel:DWORD dst_unused:UNUSED_PAD src0_sel:WORD_1 src1_sel:WORD_1
	v_sub_f16_e32 v30, v13, v8
	v_add_f16_e32 v31, v7, v9
	v_sub_f16_e32 v37, v13, v6
	v_sub_f16_sdwa v13, v13, v6 dst_sel:DWORD dst_unused:UNUSED_PAD src0_sel:WORD_1 src1_sel:WORD_1
	v_add_f16_e32 v39, v12, v21
	v_pk_add_f16 v25, v25, v9
	v_sub_f16_sdwa v41, v6, v10 dst_sel:DWORD dst_unused:UNUSED_PAD src0_sel:WORD_1 src1_sel:WORD_1
	v_add_f16_e32 v42, v6, v10
	v_sub_f16_e32 v43, v6, v10
	v_add_f16_sdwa v6, v6, v10 dst_sel:DWORD dst_unused:UNUSED_PAD src0_sel:WORD_1 src1_sel:WORD_1
	v_lshrrev_b32_e32 v46, 16, v23
	v_sub_f16_e32 v28, v8, v10
	v_sub_f16_sdwa v8, v8, v10 dst_sel:DWORD dst_unused:UNUSED_PAD src0_sel:WORD_1 src1_sel:WORD_1
	v_sub_f16_sdwa v32, v7, v9 dst_sel:DWORD dst_unused:UNUSED_PAD src0_sel:WORD_1 src1_sel:WORD_1
	v_sub_f16_e32 v33, v7, v12
	v_add_f16_sdwa v34, v7, v9 dst_sel:DWORD dst_unused:UNUSED_PAD src0_sel:WORD_1 src1_sel:WORD_1
	v_sub_f16_e32 v35, v7, v9
	v_sub_f16_sdwa v36, v12, v7 dst_sel:DWORD dst_unused:UNUSED_PAD src0_sel:WORD_1 src1_sel:WORD_1
	v_sub_f16_sdwa v7, v7, v12 dst_sel:DWORD dst_unused:UNUSED_PAD src0_sel:WORD_1 src1_sel:WORD_1
	;; [unrolled: 1-line block ×3, first 2 shown]
	v_sub_f16_e32 v40, v12, v21
	v_add_f16_sdwa v12, v12, v21 dst_sel:DWORD dst_unused:UNUSED_PAD src0_sel:WORD_1 src1_sel:WORD_1
	v_pk_add_f16 v24, v24, v10
	v_sub_f16_e32 v10, v9, v21
	v_sub_f16_sdwa v44, v21, v9 dst_sel:DWORD dst_unused:UNUSED_PAD src0_sel:WORD_1 src1_sel:WORD_1
	v_sub_f16_sdwa v9, v9, v21 dst_sel:DWORD dst_unused:UNUSED_PAD src0_sel:WORD_1 src1_sel:WORD_1
	v_pk_add_f16 v21, v25, v21
	v_fma_f16 v25, v31, -0.5, v5
	v_fma_f16 v31, v39, -0.5, v5
	v_lshrrev_b32_e32 v5, 16, v5
	s_movk_i32 s1, 0x3b9c
	s_mov_b32 s5, 0xbb9c
	v_fma_f16 v6, v6, -0.5, v46
	s_movk_i32 s4, 0x38b4
	s_mov_b32 s6, 0xb8b4
	v_fma_f16 v34, v34, -0.5, v5
	v_fma_f16 v26, v26, -0.5, v23
	;; [unrolled: 1-line block ×3, first 2 shown]
	v_add_f16_e32 v8, v13, v8
	v_fma_f16 v13, v30, s1, v6
	v_fma_f16 v6, v30, s5, v6
	v_fma_f16 v5, v12, -0.5, v5
	s_movk_i32 s0, 0x34f2
	v_add_f16_e32 v28, v37, v28
	v_fma_f16 v37, v27, s5, v23
	v_fma_f16 v23, v27, s1, v23
	;; [unrolled: 1-line block ×4, first 2 shown]
	v_add_f16_e32 v7, v7, v9
	v_fma_f16 v9, v35, s1, v5
	v_fma_f16 v37, v41, s4, v37
	;; [unrolled: 1-line block ×5, first 2 shown]
	v_add_f16_e32 v8, v33, v10
	v_fma_f16 v10, v32, s5, v31
	v_fma_f16 v9, v40, s6, v9
	;; [unrolled: 1-line block ×10, first 2 shown]
	v_add_f16_e32 v36, v36, v44
	v_fma_f16 v39, v32, s4, v39
	v_fma_f16 v44, v40, s5, v34
	;; [unrolled: 1-line block ×5, first 2 shown]
	v_mul_f16_e32 v7, 0x3b9c, v9
	v_fma_f16 v39, v20, s0, v39
	v_fma_f16 v44, v35, s6, v44
	;; [unrolled: 1-line block ×4, first 2 shown]
	v_mul_f16_e32 v10, 0xbb9c, v10
	v_fma_f16 v44, v36, s0, v44
	s_movk_i32 s7, 0x3a79
	v_mul_f16_e32 v45, 0x3a79, v39
	v_mul_f16_e32 v39, 0xb8b4, v39
	v_fma_f16 v29, v29, -0.5, v46
	v_fma_f16 v9, v9, s0, v10
	v_mul_f16_e32 v10, 0x34f2, v8
	v_fma_f16 v45, v44, s4, v45
	v_fma_f16 v39, v44, s7, v39
	;; [unrolled: 1-line block ×4, first 2 shown]
	v_fma_f16 v10, v5, s1, -v10
	v_mul_f16_e32 v5, 0x34f2, v5
	v_fma_f16 v44, v27, s4, v44
	v_fma_f16 v47, v30, s6, v47
	v_fma_f16 v5, v8, s5, -v5
	v_fma_f16 v44, v15, s0, v44
	v_fma_f16 v47, v16, s0, v47
	v_add_f16_e32 v8, v23, v10
	v_add_f16_e32 v12, v6, v5
	;; [unrolled: 1-line block ×4, first 2 shown]
	v_pack_b32_f16 v8, v8, v12
	v_add_f16_e32 v12, v37, v7
	v_add_f16_e32 v28, v13, v9
	v_pack_b32_f16 v48, v48, v49
	v_mad_u32_u24 v49, v0, 36, v1
	v_pack_b32_f16 v12, v12, v28
	s_barrier
	ds_write2_b32 v49, v12, v8 offset0:2 offset1:3
	v_fma_f16 v8, v41, s5, v26
	v_fma_f16 v8, v27, s6, v8
	;; [unrolled: 1-line block ×12, first 2 shown]
	v_mul_f16_e32 v20, 0x3a79, v15
	v_fma_f16 v20, v16, s4, -v20
	v_mul_f16_e32 v16, 0x3a79, v16
	v_fma_f16 v15, v15, s6, -v16
	v_pk_add_f16 v50, v24, v21
	v_pk_add_f16 v16, v24, v21 neg_lo:[0,1] neg_hi:[0,1]
	v_add_f16_e32 v21, v8, v20
	v_add_f16_e32 v24, v12, v15
	v_sub_f16_e32 v10, v23, v10
	v_sub_f16_e32 v8, v8, v20
	;; [unrolled: 1-line block ×4, first 2 shown]
	v_pack_b32_f16 v21, v21, v24
	v_pack_b32_f16 v6, v8, v6
	;; [unrolled: 1-line block ×3, first 2 shown]
	s_movk_i32 s7, 0xcd
	ds_write2_b32 v49, v21, v16 offset0:4 offset1:5
	v_sub_f16_e32 v16, v44, v45
	v_sub_f16_e32 v20, v47, v39
	ds_write2_b32 v49, v5, v6 offset0:8 offset1:9
	v_mul_lo_u16_sdwa v5, v0, s7 dst_sel:DWORD dst_unused:UNUSED_PAD src0_sel:BYTE_0 src1_sel:DWORD
	v_pack_b32_f16 v12, v16, v20
	v_lshrrev_b16_e32 v16, 11, v5
	v_sub_f16_e32 v7, v37, v7
	v_sub_f16_e32 v9, v13, v9
	v_mul_lo_u16_e32 v5, 10, v16
	v_pack_b32_f16 v7, v7, v9
	v_sub_u16_e32 v27, v0, v5
	v_mov_b32_e32 v9, 4
	v_lshlrev_b32_sdwa v5, v9, v27 dst_sel:DWORD dst_unused:UNUSED_PAD src0_sel:DWORD src1_sel:BYTE_0
	ds_write2_b32 v49, v50, v48 offset1:1
	ds_write2_b32 v49, v12, v7 offset0:6 offset1:7
	s_waitcnt lgkmcnt(0)
	s_barrier
	global_load_dwordx4 v[5:8], v5, s[8:9]
	v_mul_lo_u16_sdwa v10, v4, s7 dst_sel:DWORD dst_unused:UNUSED_PAD src0_sel:BYTE_0 src1_sel:DWORD
	v_lshrrev_b16_e32 v28, 11, v10
	v_mul_lo_u16_e32 v10, 10, v28
	v_sub_u16_e32 v29, v4, v10
	v_lshlrev_b32_sdwa v9, v9, v29 dst_sel:DWORD dst_unused:UNUSED_PAD src0_sel:DWORD src1_sel:BYTE_0
	global_load_dwordx4 v[23:26], v9, s[8:9]
	ds_read2_b32 v[9:10], v1 offset0:130 offset1:195
	ds_read2_b32 v[12:13], v14 offset0:4 offset1:69
	s_movk_i32 s7, 0xc8
	v_mad_u32_u24 v16, v16, s7, 0
	s_waitcnt lgkmcnt(1)
	v_lshrrev_b32_e32 v15, 16, v9
	s_waitcnt vmcnt(1)
	v_mul_f16_sdwa v20, v5, v9 dst_sel:DWORD dst_unused:UNUSED_PAD src0_sel:WORD_1 src1_sel:DWORD
	v_fma_f16 v30, v5, v15, v20
	v_mul_f16_sdwa v15, v5, v15 dst_sel:DWORD dst_unused:UNUSED_PAD src0_sel:WORD_1 src1_sel:DWORD
	v_fma_f16 v31, v5, v9, -v15
	s_waitcnt lgkmcnt(0)
	v_lshrrev_b32_e32 v5, 16, v12
	ds_read2_b32 v[20:21], v14 offset0:134 offset1:199
	v_mul_f16_sdwa v9, v6, v12 dst_sel:DWORD dst_unused:UNUSED_PAD src0_sel:WORD_1 src1_sel:DWORD
	v_fma_f16 v32, v6, v5, v9
	v_mul_f16_sdwa v5, v6, v5 dst_sel:DWORD dst_unused:UNUSED_PAD src0_sel:WORD_1 src1_sel:DWORD
	v_add_u32_e32 v15, 0x800, v1
	v_fma_f16 v12, v6, v12, -v5
	ds_read2_b32 v[5:6], v15 offset0:8 offset1:73
	s_waitcnt lgkmcnt(1)
	v_lshrrev_b32_e32 v9, 16, v20
	v_mul_f16_sdwa v33, v7, v20 dst_sel:DWORD dst_unused:UNUSED_PAD src0_sel:WORD_1 src1_sel:DWORD
	v_fma_f16 v33, v7, v9, v33
	v_mul_f16_sdwa v9, v7, v9 dst_sel:DWORD dst_unused:UNUSED_PAD src0_sel:WORD_1 src1_sel:DWORD
	v_fma_f16 v34, v7, v20, -v9
	s_waitcnt lgkmcnt(0)
	v_lshrrev_b32_e32 v7, 16, v5
	v_mul_f16_sdwa v9, v8, v5 dst_sel:DWORD dst_unused:UNUSED_PAD src0_sel:WORD_1 src1_sel:DWORD
	v_fma_f16 v35, v8, v7, v9
	ds_read_u16 v9, v1 offset:782
	v_mul_f16_sdwa v7, v8, v7 dst_sel:DWORD dst_unused:UNUSED_PAD src0_sel:WORD_1 src1_sel:DWORD
	v_fma_f16 v36, v8, v5, -v7
	v_lshl_add_u32 v20, v4, 2, v19
	ds_read_b32 v37, v20
	ds_read_b32 v38, v17
	s_waitcnt vmcnt(0) lgkmcnt(2)
	v_mul_f16_sdwa v5, v9, v23 dst_sel:DWORD dst_unused:UNUSED_PAD src0_sel:DWORD src1_sel:WORD_1
	v_fma_f16 v39, v23, v10, -v5
	v_mul_f16_sdwa v5, v23, v10 dst_sel:DWORD dst_unused:UNUSED_PAD src0_sel:WORD_1 src1_sel:DWORD
	v_fma_f16 v40, v9, v23, v5
	v_lshrrev_b32_e32 v5, 16, v13
	v_mul_f16_sdwa v7, v5, v24 dst_sel:DWORD dst_unused:UNUSED_PAD src0_sel:DWORD src1_sel:WORD_1
	v_fma_f16 v41, v13, v24, -v7
	v_mul_f16_sdwa v7, v13, v24 dst_sel:DWORD dst_unused:UNUSED_PAD src0_sel:DWORD src1_sel:WORD_1
	v_fma_f16 v13, v5, v24, v7
	v_lshrrev_b32_e32 v5, 16, v21
	v_mul_f16_sdwa v7, v5, v25 dst_sel:DWORD dst_unused:UNUSED_PAD src0_sel:DWORD src1_sel:WORD_1
	v_fma_f16 v42, v21, v25, -v7
	v_mul_f16_sdwa v7, v21, v25 dst_sel:DWORD dst_unused:UNUSED_PAD src0_sel:DWORD src1_sel:WORD_1
	;; [unrolled: 5-line block ×3, first 2 shown]
	v_fma_f16 v45, v5, v26, v6
	v_sub_f16_e32 v5, v31, v12
	v_sub_f16_e32 v6, v36, v34
	v_add_f16_e32 v5, v5, v6
	v_sub_f16_e32 v6, v12, v31
	v_sub_f16_e32 v7, v34, v36
	v_add_f16_e32 v9, v6, v7
	v_add_f16_e32 v6, v12, v34
	s_waitcnt lgkmcnt(0)
	v_fma_f16 v6, v6, -0.5, v38
	v_sub_f16_e32 v10, v30, v35
	v_add_f16_e32 v8, v31, v36
	v_fma_f16 v7, v10, s1, v6
	v_sub_f16_e32 v21, v32, v33
	v_fma_f16 v23, v8, -0.5, v38
	v_fma_f16 v6, v10, s5, v6
	v_fma_f16 v7, v21, s4, v7
	;; [unrolled: 1-line block ×11, first 2 shown]
	v_sub_f16_e32 v9, v41, v39
	v_sub_f16_e32 v10, v42, v44
	v_add_f16_e32 v10, v9, v10
	v_add_f16_e32 v9, v39, v44
	v_fma_f16 v9, v9, -0.5, v37
	v_sub_f16_e32 v47, v13, v43
	v_sub_f16_e32 v46, v40, v45
	v_fma_f16 v21, v47, s5, v9
	v_fma_f16 v21, v46, s4, v21
	;; [unrolled: 1-line block ×5, first 2 shown]
	v_add_f16_e32 v21, v38, v31
	v_add_f16_e32 v21, v21, v12
	;; [unrolled: 1-line block ×3, first 2 shown]
	v_fma_f16 v10, v10, s0, v23
	v_add_f16_e32 v21, v21, v36
	v_sub_f16_e32 v31, v31, v36
	v_sub_f16_e32 v23, v30, v32
	;; [unrolled: 1-line block ×3, first 2 shown]
	v_mov_b32_e32 v36, 2
	v_sub_f16_e32 v12, v12, v34
	v_add_f16_e32 v34, v23, v24
	v_lshlrev_b32_sdwa v23, v36, v27 dst_sel:DWORD dst_unused:UNUSED_PAD src0_sel:DWORD src1_sel:BYTE_0
	v_lshrrev_b32_e32 v25, 16, v38
	v_add_f16_e32 v24, v32, v33
	v_add3_u32 v16, v16, v23, v11
	v_add_f16_e32 v23, v25, v30
	v_fma_f16 v27, v24, -0.5, v25
	v_add_f16_e32 v23, v23, v32
	v_fma_f16 v24, v31, s5, v27
	v_add_f16_e32 v23, v23, v33
	v_fma_f16 v24, v12, s6, v24
	;; [unrolled: 2-line block ×3, first 2 shown]
	v_pack_b32_f16 v26, v21, v23
	v_pack_b32_f16 v38, v7, v24
	s_barrier
	ds_write2_b32 v16, v26, v38 offset1:10
	v_add_f16_e32 v26, v30, v35
	v_fma_f16 v26, v26, -0.5, v25
	v_sub_f16_e32 v25, v32, v30
	v_sub_f16_e32 v30, v33, v35
	v_add_f16_e32 v30, v25, v30
	v_fma_f16 v25, v12, s1, v26
	v_fma_f16 v26, v12, s5, v26
	;; [unrolled: 1-line block ×9, first 2 shown]
	v_pack_b32_f16 v30, v8, v25
	v_pack_b32_f16 v32, v5, v26
	;; [unrolled: 1-line block ×3, first 2 shown]
	ds_write2_b32 v16, v30, v32 offset0:20 offset1:30
	ds_write_b32 v16, v12 offset:160
	v_lshlrev_b32_sdwa v12, v36, v29 dst_sel:DWORD dst_unused:UNUSED_PAD src0_sel:DWORD src1_sel:BYTE_0
	v_mad_u32_u24 v16, v28, s7, 0
	v_add3_u32 v16, v16, v12, v11
	v_sub_f16_e32 v11, v39, v41
	v_sub_f16_e32 v12, v44, v42
	;; [unrolled: 1-line block ×4, first 2 shown]
	v_add_f16_e32 v33, v11, v12
	v_add_f16_e32 v12, v41, v42
	v_add_f16_e32 v36, v28, v29
	v_lshrrev_b32_e32 v28, 16, v37
	v_add_f16_e32 v30, v13, v43
	v_add_f16_e32 v11, v37, v39
	v_fma_f16 v31, v12, -0.5, v37
	v_sub_f16_e32 v34, v39, v44
	v_add_f16_e32 v29, v28, v40
	v_fma_f16 v37, v30, -0.5, v28
	v_add_f16_e32 v11, v11, v41
	v_fma_f16 v12, v46, s1, v31
	v_sub_f16_e32 v35, v41, v42
	v_add_f16_e32 v29, v29, v13
	v_fma_f16 v30, v34, s5, v37
	v_add_f16_e32 v11, v11, v42
	v_fma_f16 v12, v47, s4, v12
	;; [unrolled: 2-line block ×5, first 2 shown]
	v_pack_b32_f16 v32, v11, v29
	v_pack_b32_f16 v38, v12, v30
	ds_write2_b32 v16, v32, v38 offset1:10
	v_add_f16_e32 v32, v40, v45
	v_fma_f16 v28, v32, -0.5, v28
	v_sub_f16_e32 v13, v13, v40
	v_sub_f16_e32 v32, v43, v45
	v_add_f16_e32 v13, v13, v32
	v_fma_f16 v32, v35, s1, v28
	v_fma_f16 v28, v35, s5, v28
	;; [unrolled: 1-line block ×6, first 2 shown]
	v_pack_b32_f16 v13, v9, v32
	v_pack_b32_f16 v38, v10, v28
	ds_write2_b32 v16, v13, v38 offset0:20 offset1:30
	v_fma_f16 v13, v46, s5, v31
	v_fma_f16 v31, v34, s1, v37
	;; [unrolled: 1-line block ×6, first 2 shown]
	v_pack_b32_f16 v33, v13, v31
	v_cmp_gt_u32_e64 s[0:1], 50, v0
	ds_write_b32 v16, v33 offset:160
	s_waitcnt lgkmcnt(0)
	s_barrier
	s_waitcnt lgkmcnt(0)
                                        ; implicit-def: $vgpr35
                                        ; implicit-def: $vgpr34
                                        ; implicit-def: $vgpr33
                                        ; implicit-def: $vgpr16
	s_and_saveexec_b64 s[4:5], s[0:1]
	s_cbranch_execz .LBB0_14
; %bb.13:
	ds_read_b32 v21, v17
	ds_read2_b32 v[7:8], v1 offset0:50 offset1:100
	ds_read2_b32 v[5:6], v1 offset0:150 offset1:200
	;; [unrolled: 1-line block ×6, first 2 shown]
	s_waitcnt lgkmcnt(6)
	v_lshrrev_b32_e32 v23, 16, v21
	s_waitcnt lgkmcnt(5)
	v_lshrrev_b32_e32 v24, 16, v7
	;; [unrolled: 2-line block ×4, first 2 shown]
	v_lshrrev_b32_e32 v33, 16, v14
	s_waitcnt lgkmcnt(1)
	v_lshrrev_b32_e32 v34, 16, v15
	v_lshrrev_b32_e32 v35, 16, v16
	;; [unrolled: 1-line block ×5, first 2 shown]
	s_waitcnt lgkmcnt(0)
	v_lshrrev_b32_e32 v29, 16, v11
	v_lshrrev_b32_e32 v30, 16, v12
	;; [unrolled: 1-line block ×3, first 2 shown]
.LBB0_14:
	s_or_b64 exec, exec, s[4:5]
	s_barrier
	s_and_saveexec_b64 s[4:5], s[0:1]
	s_cbranch_execz .LBB0_16
; %bb.15:
	v_subrev_u32_e32 v22, 50, v0
	v_cndmask_b32_e64 v22, v22, v0, s[0:1]
	v_mul_i32_i24_e32 v36, 12, v22
	v_mov_b32_e32 v37, 0
	v_lshlrev_b64 v[36:37], 2, v[36:37]
	v_mov_b32_e32 v22, s9
	v_add_co_u32_e64 v48, s[0:1], s8, v36
	v_addc_co_u32_e64 v49, s[0:1], v22, v37, s[0:1]
	global_load_dwordx4 v[36:39], v[48:49], off offset:160
	global_load_dwordx4 v[40:43], v[48:49], off offset:192
	;; [unrolled: 1-line block ×3, first 2 shown]
	s_mov_b32 s0, 0xbbc4
	s_movk_i32 s1, 0x3b15
	s_mov_b32 s6, 0xb9fd
	s_movk_i32 s7, 0x388b
	;; [unrolled: 2-line block ×3, first 2 shown]
	s_waitcnt vmcnt(2)
	v_mul_f16_sdwa v22, v24, v36 dst_sel:DWORD dst_unused:UNUSED_PAD src0_sel:DWORD src1_sel:WORD_1
	s_waitcnt vmcnt(1)
	v_mul_f16_sdwa v48, v35, v43 dst_sel:DWORD dst_unused:UNUSED_PAD src0_sel:DWORD src1_sel:WORD_1
	v_mul_f16_sdwa v49, v16, v43 dst_sel:DWORD dst_unused:UNUSED_PAD src0_sel:DWORD src1_sel:WORD_1
	;; [unrolled: 1-line block ×5, first 2 shown]
	v_fma_f16 v7, v7, v36, -v22
	v_fma_f16 v16, v16, v43, -v48
	v_mul_f16_sdwa v53, v15, v42 dst_sel:DWORD dst_unused:UNUSED_PAD src0_sel:DWORD src1_sel:WORD_1
	v_mul_f16_sdwa v54, v8, v37 dst_sel:DWORD dst_unused:UNUSED_PAD src0_sel:DWORD src1_sel:WORD_1
	;; [unrolled: 1-line block ×4, first 2 shown]
	v_fma_f16 v8, v8, v37, -v51
	v_fma_f16 v15, v15, v42, -v52
	v_fma_f16 v22, v35, v43, v49
	v_fma_f16 v24, v24, v36, v50
	v_sub_f16_e32 v35, v7, v16
	v_mul_f16_sdwa v57, v14, v41 dst_sel:DWORD dst_unused:UNUSED_PAD src0_sel:DWORD src1_sel:WORD_1
	v_mul_f16_sdwa v58, v5, v38 dst_sel:DWORD dst_unused:UNUSED_PAD src0_sel:DWORD src1_sel:WORD_1
	;; [unrolled: 1-line block ×5, first 2 shown]
	v_fma_f16 v34, v34, v42, v53
	v_fma_f16 v25, v25, v37, v54
	v_fma_f16 v5, v5, v38, -v55
	v_fma_f16 v14, v14, v41, -v56
	v_add_f16_e32 v36, v24, v22
	v_sub_f16_e32 v37, v8, v15
	v_mul_f16_e32 v48, 0xb3a8, v35
	v_mul_f16_sdwa v61, v13, v40 dst_sel:DWORD dst_unused:UNUSED_PAD src0_sel:DWORD src1_sel:WORD_1
	s_waitcnt vmcnt(0)
	v_mul_f16_sdwa v63, v29, v44 dst_sel:DWORD dst_unused:UNUSED_PAD src0_sel:DWORD src1_sel:WORD_1
	v_mul_f16_sdwa v64, v28, v47 dst_sel:DWORD dst_unused:UNUSED_PAD src0_sel:DWORD src1_sel:WORD_1
	v_fma_f16 v33, v33, v41, v57
	v_fma_f16 v26, v26, v38, v58
	v_fma_f16 v6, v6, v39, -v59
	v_fma_f16 v13, v13, v40, -v60
	v_fma_f16 v27, v27, v39, v62
	v_add_f16_e32 v38, v25, v34
	v_sub_f16_e32 v39, v5, v14
	v_mul_f16_e32 v49, 0x3770, v37
	v_fma_f16 v54, v36, s0, v48
	v_mul_f16_sdwa v65, v10, v47 dst_sel:DWORD dst_unused:UNUSED_PAD src0_sel:DWORD src1_sel:WORD_1
	v_mul_f16_sdwa v66, v11, v44 dst_sel:DWORD dst_unused:UNUSED_PAD src0_sel:DWORD src1_sel:WORD_1
	;; [unrolled: 1-line block ×4, first 2 shown]
	v_fma_f16 v31, v31, v40, v61
	v_fma_f16 v11, v11, v44, -v63
	v_fma_f16 v10, v10, v47, -v64
	v_add_f16_e32 v40, v26, v33
	v_sub_f16_e32 v41, v6, v13
	v_mul_f16_e32 v50, 0xb94e, v39
	v_fma_f16 v55, v38, s1, v49
	v_add_f16_e32 v54, v23, v54
	v_mul_f16_sdwa v69, v9, v46 dst_sel:DWORD dst_unused:UNUSED_PAD src0_sel:DWORD src1_sel:WORD_1
	v_mul_f16_sdwa v70, v12, v45 dst_sel:DWORD dst_unused:UNUSED_PAD src0_sel:DWORD src1_sel:WORD_1
	v_fma_f16 v28, v28, v47, v65
	v_fma_f16 v29, v29, v44, v66
	v_fma_f16 v12, v12, v45, -v67
	v_fma_f16 v9, v9, v46, -v68
	v_add_f16_e32 v42, v27, v31
	v_sub_f16_e32 v43, v11, v10
	v_mul_f16_e32 v51, 0x3a95, v41
	v_fma_f16 v56, v40, s6, v50
	v_add_f16_e32 v54, v55, v54
	v_fma_f16 v32, v32, v46, v69
	v_fma_f16 v30, v30, v45, v70
	v_add_f16_e32 v44, v29, v28
	v_sub_f16_e32 v45, v12, v9
	v_mul_f16_e32 v52, 0xbb7b, v43
	v_fma_f16 v57, v42, s7, v51
	v_add_f16_e32 v54, v56, v54
	v_add_f16_e32 v46, v30, v32
	v_mul_f16_e32 v53, 0x3bf1, v45
	v_fma_f16 v58, v44, s10, v52
	v_add_f16_e32 v54, v57, v54
	v_fma_f16 v59, v46, s11, v53
	v_add_f16_e32 v54, v58, v54
	v_sub_f16_e32 v55, v24, v22
	v_add_f16_e32 v47, v7, v16
	v_add_f16_e32 v54, v59, v54
	v_mul_f16_e32 v56, 0xb3a8, v55
	v_sub_f16_e32 v59, v25, v34
	v_fma_f16 v57, v47, s0, -v56
	v_add_f16_e32 v58, v8, v15
	v_mul_f16_e32 v60, 0x3770, v59
	v_add_f16_e32 v57, v21, v57
	v_fma_f16 v61, v58, s1, -v60
	v_sub_f16_e32 v62, v26, v33
	v_add_f16_e32 v57, v61, v57
	v_add_f16_e32 v61, v5, v14
	v_mul_f16_e32 v63, 0xb94e, v62
	v_fma_f16 v64, v61, s6, -v63
	v_sub_f16_e32 v65, v27, v31
	v_add_f16_e32 v57, v64, v57
	v_add_f16_e32 v64, v6, v13
	v_mul_f16_e32 v66, 0x3a95, v65
	;; [unrolled: 5-line block ×4, first 2 shown]
	v_fma_f16 v73, v70, s11, -v72
	v_add_f16_e32 v57, v73, v57
	v_mul_f16_e32 v73, 0xb94e, v35
	v_fma_f16 v74, v36, s6, v73
	v_mul_f16_e32 v75, 0x3bf1, v37
	v_add_f16_e32 v74, v23, v74
	v_fma_f16 v76, v38, s11, v75
	v_add_f16_e32 v74, v76, v74
	v_mul_f16_e32 v76, 0xba95, v39
	v_fma_f16 v77, v40, s7, v76
	v_add_f16_e32 v74, v77, v74
	v_mul_f16_e32 v77, 0x33a8, v41
	;; [unrolled: 3-line block ×5, first 2 shown]
	v_fma_f16 v81, v47, s6, -v80
	v_mul_f16_e32 v82, 0x3bf1, v59
	v_add_f16_e32 v81, v21, v81
	v_fma_f16 v83, v58, s11, -v82
	v_add_f16_e32 v81, v83, v81
	v_mul_f16_e32 v83, 0xba95, v62
	v_fma_f16 v84, v61, s7, -v83
	v_add_f16_e32 v81, v84, v81
	v_mul_f16_e32 v84, 0x33a8, v65
	;; [unrolled: 3-line block ×5, first 2 shown]
	v_fma_f16 v88, v36, s10, v87
	v_mul_f16_e32 v89, 0x394e, v37
	v_add_f16_e32 v88, v23, v88
	v_fma_f16 v90, v38, s6, v89
	v_add_f16_e32 v88, v90, v88
	v_mul_f16_e32 v90, 0x3770, v39
	v_fma_f16 v91, v40, s1, v90
	v_add_f16_e32 v88, v91, v88
	v_mul_f16_e32 v91, 0xbbf1, v41
	;; [unrolled: 3-line block ×3, first 2 shown]
	v_add_f16_e32 v7, v21, v7
	v_fma_f16 v93, v44, s0, v92
	v_add_f16_e32 v7, v7, v8
	v_add_f16_e32 v88, v93, v88
	v_mul_f16_e32 v93, 0x3a95, v45
	v_add_f16_e32 v5, v7, v5
	v_fma_f16 v7, v36, s0, -v48
	v_fma_f16 v94, v46, s7, v93
	v_add_f16_e32 v7, v23, v7
	v_fma_f16 v8, v38, s1, -v49
	v_add_f16_e32 v88, v94, v88
	v_mul_f16_e32 v94, 0xbb7b, v55
	v_add_f16_e32 v7, v8, v7
	v_fma_f16 v8, v40, s6, -v50
	v_fma_f16 v95, v47, s10, -v94
	v_mul_f16_e32 v96, 0x394e, v59
	v_add_f16_e32 v7, v8, v7
	v_fma_f16 v8, v42, s7, -v51
	v_add_f16_e32 v95, v21, v95
	v_fma_f16 v97, v58, s6, -v96
	v_add_f16_e32 v5, v5, v6
	v_add_f16_e32 v7, v8, v7
	v_fma_f16 v8, v44, s10, -v52
	v_add_f16_e32 v95, v97, v95
	v_mul_f16_e32 v97, 0x3770, v62
	v_add_f16_e32 v5, v5, v11
	v_add_f16_e32 v7, v8, v7
	v_fma_f16 v8, v46, s11, -v53
	v_fma_f16 v98, v61, s1, -v97
	v_add_f16_e32 v5, v5, v12
	v_add_f16_e32 v7, v8, v7
	v_fma_f16 v8, v47, s0, v56
	v_add_f16_e32 v95, v98, v95
	v_mul_f16_e32 v98, 0xbbf1, v65
	v_add_f16_e32 v5, v5, v9
	v_add_f16_e32 v8, v21, v8
	v_fma_f16 v9, v58, s1, v60
	v_fma_f16 v99, v64, s11, -v98
	v_add_f16_e32 v8, v9, v8
	v_fma_f16 v9, v61, s6, v63
	v_add_f16_e32 v95, v99, v95
	v_mul_f16_e32 v99, 0x33a8, v68
	v_add_f16_e32 v8, v9, v8
	v_fma_f16 v9, v64, s7, v66
	v_fma_f16 v100, v67, s0, -v99
	v_add_f16_e32 v8, v9, v8
	v_fma_f16 v9, v67, s10, v69
	v_add_f16_e32 v95, v100, v95
	v_mul_f16_e32 v100, 0x3a95, v71
	v_add_f16_e32 v8, v9, v8
	v_fma_f16 v9, v70, s11, v72
	v_fma_f16 v101, v70, s7, -v100
	v_add_f16_e32 v8, v9, v8
	v_fma_f16 v9, v36, s6, -v73
	v_add_f16_e32 v95, v101, v95
	v_mul_f16_e32 v101, 0xbbf1, v35
	v_add_f16_e32 v5, v5, v10
	v_add_f16_e32 v9, v23, v9
	v_fma_f16 v10, v38, s11, -v75
	v_fma_f16 v102, v36, s11, v101
	v_mul_f16_e32 v103, 0xb3a8, v37
	v_add_f16_e32 v9, v10, v9
	v_fma_f16 v10, v40, s7, -v76
	v_add_f16_e32 v102, v23, v102
	v_fma_f16 v104, v38, s0, v103
	v_add_f16_e32 v9, v10, v9
	v_fma_f16 v10, v42, s0, -v77
	v_add_f16_e32 v102, v104, v102
	v_mul_f16_e32 v104, 0x3b7b, v39
	v_add_f16_e32 v9, v10, v9
	v_fma_f16 v10, v44, s1, -v78
	v_fma_f16 v105, v40, s10, v104
	v_add_f16_e32 v9, v10, v9
	v_fma_f16 v10, v46, s10, -v79
	v_add_f16_e32 v102, v105, v102
	v_mul_f16_e32 v105, 0x3770, v41
	v_add_f16_e32 v9, v10, v9
	v_fma_f16 v10, v47, s6, v80
	v_fma_f16 v106, v42, s1, v105
	v_add_f16_e32 v10, v21, v10
	v_fma_f16 v11, v58, s11, v82
	v_add_f16_e32 v102, v106, v102
	v_mul_f16_e32 v106, 0xba95, v43
	v_add_f16_e32 v10, v11, v10
	v_fma_f16 v11, v61, s7, v83
	v_fma_f16 v107, v44, s7, v106
	v_add_f16_e32 v10, v11, v10
	v_fma_f16 v11, v64, s0, v84
	;; [unrolled: 7-line block ×3, first 2 shown]
	v_add_f16_e32 v102, v108, v102
	v_mul_f16_e32 v108, 0xbbf1, v55
	v_add_f16_e32 v10, v11, v10
	v_fma_f16 v11, v36, s10, -v87
	v_fma_f16 v109, v47, s11, -v108
	v_mul_f16_e32 v110, 0xb3a8, v59
	v_add_f16_e32 v11, v23, v11
	v_fma_f16 v12, v38, s6, -v89
	v_add_f16_e32 v109, v21, v109
	v_fma_f16 v111, v58, s0, -v110
	;; [unrolled: 2-line block ×3, first 2 shown]
	v_add_f16_e32 v109, v111, v109
	v_mul_f16_e32 v111, 0x3b7b, v62
	v_add_f16_e32 v11, v12, v11
	v_fma_f16 v12, v42, s11, -v91
	v_fma_f16 v112, v61, s10, -v111
	v_add_f16_e32 v11, v12, v11
	v_fma_f16 v12, v44, s0, -v92
	v_add_f16_e32 v109, v112, v109
	v_mul_f16_e32 v112, 0x3770, v65
	v_add_f16_e32 v11, v12, v11
	v_fma_f16 v12, v46, s7, -v93
	v_fma_f16 v113, v64, s1, -v112
	v_add_f16_e32 v11, v12, v11
	v_fma_f16 v12, v47, s10, v94
	v_add_f16_e32 v109, v113, v109
	v_mul_f16_e32 v113, 0xba95, v68
	v_add_f16_e32 v5, v5, v13
	v_add_f16_e32 v12, v21, v12
	v_fma_f16 v13, v58, s6, v96
	v_fma_f16 v114, v67, s7, -v113
	v_add_f16_e32 v12, v13, v12
	v_fma_f16 v13, v61, s1, v97
	v_add_f16_e32 v109, v114, v109
	v_mul_f16_e32 v114, 0xb94e, v71
	v_add_f16_e32 v12, v13, v12
	v_fma_f16 v13, v64, s11, v98
	v_fma_f16 v115, v70, s6, -v114
	v_add_f16_e32 v12, v13, v12
	v_fma_f16 v13, v67, s0, v99
	v_add_f16_e32 v109, v115, v109
	v_mul_f16_e32 v115, 0xba95, v35
	v_add_f16_e32 v12, v13, v12
	v_fma_f16 v13, v70, s7, v100
	v_fma_f16 v116, v36, s7, v115
	v_mul_f16_e32 v117, 0xbb7b, v37
	v_add_f16_e32 v12, v13, v12
	v_fma_f16 v13, v36, s11, -v101
	v_add_f16_e32 v116, v23, v116
	v_fma_f16 v118, v38, s10, v117
	v_add_f16_e32 v5, v5, v14
	v_add_f16_e32 v13, v23, v13
	v_fma_f16 v14, v38, s0, -v103
	v_add_f16_e32 v116, v118, v116
	v_mul_f16_e32 v118, 0xb3a8, v39
	v_add_f16_e32 v13, v14, v13
	v_fma_f16 v14, v40, s10, -v104
	v_fma_f16 v119, v40, s0, v118
	v_add_f16_e32 v13, v14, v13
	v_fma_f16 v14, v42, s1, -v105
	v_add_f16_e32 v116, v119, v116
	v_mul_f16_e32 v119, 0x394e, v41
	v_add_f16_e32 v13, v14, v13
	v_fma_f16 v14, v44, s7, -v106
	v_fma_f16 v120, v42, s6, v119
	v_add_f16_e32 v13, v14, v13
	v_fma_f16 v14, v46, s6, -v107
	v_add_f16_e32 v116, v120, v116
	v_mul_f16_e32 v120, 0x3bf1, v43
	v_add_f16_e32 v13, v14, v13
	v_fma_f16 v14, v47, s11, v108
	v_fma_f16 v121, v44, s11, v120
	v_add_f16_e32 v5, v5, v15
	v_add_f16_e32 v14, v21, v14
	v_fma_f16 v15, v58, s0, v110
	v_add_f16_e32 v116, v121, v116
	v_mul_f16_e32 v121, 0x3770, v45
	v_add_f16_e32 v6, v23, v24
	v_add_f16_e32 v14, v15, v14
	v_fma_f16 v15, v61, s10, v111
	v_fma_f16 v122, v46, s1, v121
	v_add_f16_e32 v6, v6, v25
	v_add_f16_e32 v14, v15, v14
	v_fma_f16 v15, v64, s1, v112
	v_add_f16_e32 v116, v122, v116
	v_mul_f16_e32 v122, 0xba95, v55
	v_add_f16_e32 v6, v6, v26
	v_add_f16_e32 v14, v15, v14
	v_fma_f16 v15, v67, s7, v113
	v_fma_f16 v123, v47, s7, -v122
	v_mul_f16_e32 v124, 0xbb7b, v59
	v_add_f16_e32 v6, v6, v27
	v_add_f16_e32 v14, v15, v14
	v_fma_f16 v15, v70, s6, v114
	v_add_f16_e32 v123, v21, v123
	v_fma_f16 v125, v58, s10, -v124
	v_add_f16_e32 v6, v6, v29
	v_add_f16_e32 v14, v15, v14
	v_fma_f16 v15, v36, s7, -v115
	v_add_f16_e32 v123, v125, v123
	v_mul_f16_e32 v125, 0xb3a8, v62
	v_add_f16_e32 v5, v5, v16
	v_add_f16_e32 v6, v6, v30
	;; [unrolled: 1-line block ×3, first 2 shown]
	v_fma_f16 v16, v38, s10, -v117
	v_fma_f16 v126, v61, s0, -v125
	v_add_f16_e32 v6, v6, v32
	v_add_f16_e32 v15, v16, v15
	v_fma_f16 v16, v40, s0, -v118
	v_add_f16_e32 v123, v126, v123
	v_mul_f16_e32 v126, 0x394e, v65
	v_add_f16_e32 v6, v6, v28
	v_add_f16_e32 v15, v16, v15
	v_fma_f16 v16, v42, s6, -v119
	v_fma_f16 v127, v64, s6, -v126
	v_add_f16_e32 v6, v6, v31
	v_add_f16_e32 v15, v16, v15
	v_fma_f16 v16, v44, s11, -v120
	v_add_f16_e32 v123, v127, v123
	v_mul_f16_e32 v127, 0x3bf1, v68
	v_add_f16_e32 v6, v6, v33
	v_add_f16_e32 v15, v16, v15
	v_fma_f16 v16, v46, s1, -v121
	v_fma_f16 v128, v67, s11, -v127
	v_add_f16_e32 v6, v6, v34
	v_add_f16_e32 v15, v16, v15
	v_fma_f16 v16, v47, s7, v122
	v_add_f16_e32 v123, v128, v123
	v_mul_f16_e32 v128, 0x3770, v71
	v_add_f16_e32 v6, v6, v22
	v_add_f16_e32 v16, v21, v16
	v_fma_f16 v22, v58, s10, v124
	v_fma_f16 v129, v70, s1, -v128
	v_mul_f16_e32 v35, 0xb770, v35
	v_add_f16_e32 v16, v22, v16
	v_fma_f16 v22, v61, s0, v125
	v_add_f16_e32 v123, v129, v123
	v_fma_f16 v129, v36, s1, v35
	v_mul_f16_e32 v37, 0xba95, v37
	v_add_f16_e32 v16, v22, v16
	v_fma_f16 v22, v64, s6, v126
	v_add_f16_e32 v129, v23, v129
	v_fma_f16 v130, v38, s7, v37
	;; [unrolled: 5-line block ×4, first 2 shown]
	v_mul_f16_e32 v43, 0xb94e, v43
	v_add_f16_e32 v16, v22, v16
	v_fma_f16 v22, v36, s1, -v35
	v_add_f16_e32 v129, v130, v129
	v_fma_f16 v130, v44, s6, v43
	v_mul_f16_e32 v45, 0xb3a8, v45
	v_add_f16_e32 v22, v23, v22
	v_fma_f16 v23, v38, s7, -v37
	v_add_f16_e32 v129, v130, v129
	v_fma_f16 v130, v46, s0, v45
	v_mul_f16_e32 v55, 0xb770, v55
	v_add_f16_e32 v22, v23, v22
	v_fma_f16 v23, v40, s11, -v39
	v_add_f16_e32 v129, v130, v129
	v_fma_f16 v130, v47, s1, -v55
	v_mul_f16_e32 v59, 0xba95, v59
	v_add_f16_e32 v22, v23, v22
	v_fma_f16 v23, v42, s10, -v41
	v_add_f16_e32 v130, v21, v130
	v_fma_f16 v131, v58, s7, -v59
	;; [unrolled: 5-line block ×4, first 2 shown]
	v_mul_f16_e32 v68, 0xb94e, v68
	v_add_f16_e32 v22, v23, v22
	v_fma_f16 v23, v47, s1, v55
	v_add_f16_e32 v130, v131, v130
	v_fma_f16 v131, v67, s6, -v68
	v_mul_f16_e32 v71, 0xb3a8, v71
	v_add_f16_e32 v21, v21, v23
	v_fma_f16 v23, v58, s7, v59
	v_add_f16_e32 v130, v131, v130
	v_fma_f16 v131, v70, s0, -v71
	v_add_f16_e32 v21, v23, v21
	v_fma_f16 v23, v61, s11, v62
	v_add_f16_e32 v130, v131, v130
	v_add_f16_e32 v21, v23, v21
	v_fma_f16 v23, v64, s10, v65
	v_pack_b32_f16 v5, v5, v6
	v_add_f16_e32 v21, v23, v21
	v_fma_f16 v23, v67, s6, v68
	ds_write_b32 v17, v5
	v_pack_b32_f16 v5, v130, v129
	v_pack_b32_f16 v6, v123, v116
	v_add_f16_e32 v21, v23, v21
	v_fma_f16 v23, v70, s0, v71
	ds_write2_b32 v1, v5, v6 offset0:50 offset1:100
	v_pack_b32_f16 v5, v109, v102
	v_pack_b32_f16 v6, v95, v88
	v_add_f16_e32 v21, v23, v21
	ds_write2_b32 v1, v5, v6 offset0:150 offset1:200
	v_pack_b32_f16 v5, v81, v74
	v_pack_b32_f16 v6, v57, v54
	v_add_u32_e32 v23, 0x200, v1
	ds_write2_b32 v23, v5, v6 offset0:122 offset1:172
	v_pack_b32_f16 v5, v8, v7
	v_pack_b32_f16 v6, v10, v9
	v_add_u32_e32 v7, 0x400, v1
	ds_write2_b32 v7, v5, v6 offset0:94 offset1:144
	v_pack_b32_f16 v5, v12, v11
	v_pack_b32_f16 v6, v14, v13
	ds_write2_b32 v7, v5, v6 offset0:194 offset1:244
	v_pack_b32_f16 v5, v16, v15
	v_pack_b32_f16 v6, v21, v22
	v_add_u32_e32 v1, 0x800, v1
	ds_write2_b32 v1, v5, v6 offset0:38 offset1:88
.LBB0_16:
	s_or_b64 exec, exec, s[4:5]
	s_waitcnt lgkmcnt(0)
	s_barrier
	ds_read_b32 v5, v17
	v_sub_u32_e32 v8, v19, v18
	v_cmp_ne_u32_e64 s[0:1], 0, v0
                                        ; implicit-def: $vgpr10
                                        ; implicit-def: $vgpr9
                                        ; implicit-def: $vgpr11
                                        ; implicit-def: $vgpr6_vgpr7
	s_and_saveexec_b64 s[4:5], s[0:1]
	s_xor_b64 s[4:5], exec, s[4:5]
	s_cbranch_execz .LBB0_18
; %bb.17:
	v_mov_b32_e32 v1, 0
	v_lshlrev_b64 v[6:7], 2, v[0:1]
	v_mov_b32_e32 v9, s9
	v_add_co_u32_e64 v6, s[0:1], s8, v6
	v_addc_co_u32_e64 v7, s[0:1], v9, v7, s[0:1]
	global_load_dword v6, v[6:7], off offset:2560
	ds_read_b32 v7, v8 offset:2600
	s_mov_b32 s0, 0xffff
                                        ; implicit-def: $vgpr19
	s_waitcnt lgkmcnt(0)
	v_pk_add_f16 v9, v5, v7 neg_lo:[0,1] neg_hi:[0,1]
	v_pk_add_f16 v5, v7, v5
	v_bfi_b32 v7, s0, v9, v5
	v_bfi_b32 v5, s0, v5, v9
	v_pk_mul_f16 v7, v7, 0.5 op_sel_hi:[1,0]
	v_pk_mul_f16 v9, v5, 0.5 op_sel_hi:[1,0]
	s_waitcnt vmcnt(0)
	v_pk_mul_f16 v10, v6, v7 op_sel:[1,0]
	v_pk_mul_f16 v6, v6, v7 op_sel_hi:[0,1]
	v_pk_fma_f16 v5, v5, 0.5, v10 op_sel_hi:[1,0,1]
	v_sub_f16_e32 v7, v9, v10
	v_sub_f16_sdwa v10, v10, v9 dst_sel:DWORD dst_unused:UNUSED_PAD src0_sel:WORD_1 src1_sel:WORD_1
	v_pk_add_f16 v12, v5, v6 op_sel:[0,1] op_sel_hi:[1,0]
	v_pk_add_f16 v5, v5, v6 op_sel:[0,1] op_sel_hi:[1,0] neg_lo:[0,1] neg_hi:[0,1]
	v_sub_f16_sdwa v9, v7, v6 dst_sel:DWORD dst_unused:UNUSED_PAD src0_sel:DWORD src1_sel:WORD_1
	v_sub_f16_e32 v11, v10, v6
	v_mov_b32_e32 v7, v1
	v_bfi_b32 v10, s0, v12, v5
	v_mov_b32_e32 v6, v0
                                        ; implicit-def: $vgpr5
.LBB0_18:
	s_andn2_saveexec_b64 s[0:1], s[4:5]
	s_cbranch_execz .LBB0_20
; %bb.19:
	ds_read_u16 v1, v19 offset:1302
	s_waitcnt lgkmcnt(1)
	v_alignbit_b32 v6, s0, v5, 16
	v_sub_f16_sdwa v9, v5, v5 dst_sel:DWORD dst_unused:UNUSED_PAD src0_sel:DWORD src1_sel:WORD_1
	v_pk_add_f16 v5, v6, v5
	v_mov_b32_e32 v6, 0
	v_pack_b32_f16 v10, v5, 0
	s_waitcnt lgkmcnt(0)
	v_xor_b32_e32 v1, 0x8000, v1
	v_mov_b32_e32 v7, 0
	v_mov_b32_e32 v11, 0
	ds_write_b16 v19, v1 offset:1302
.LBB0_20:
	s_or_b64 exec, exec, s[0:1]
	s_waitcnt lgkmcnt(0)
	v_mov_b32_e32 v5, 0
	v_lshlrev_b64 v[4:5], 2, v[4:5]
	v_mov_b32_e32 v1, s9
	v_add_co_u32_e64 v4, s[0:1], s8, v4
	v_addc_co_u32_e64 v5, s[0:1], v1, v5, s[0:1]
	global_load_dword v1, v[4:5], off offset:2560
	s_add_u32 s0, s8, 0xa00
	v_lshlrev_b64 v[4:5], 2, v[6:7]
	s_addc_u32 s1, s9, 0
	v_mov_b32_e32 v7, s1
	v_add_co_u32_e64 v6, s[0:1], s0, v4
	v_addc_co_u32_e64 v7, s[0:1], v7, v5, s[0:1]
	global_load_dword v12, v[6:7], off offset:520
	global_load_dword v13, v[6:7], off offset:780
	ds_write_b16 v8, v11 offset:2602
	ds_write_b32 v17, v10
	ds_write_b16 v8, v9 offset:2600
	ds_read_b32 v9, v20
	ds_read_b32 v10, v8 offset:2340
	global_load_dword v6, v[6:7], off offset:1040
	s_mov_b32 s0, 0xffff
	s_waitcnt lgkmcnt(0)
	v_pk_add_f16 v7, v9, v10 neg_lo:[0,1] neg_hi:[0,1]
	v_pk_add_f16 v9, v9, v10
	v_bfi_b32 v10, s0, v7, v9
	v_bfi_b32 v7, s0, v9, v7
	v_pk_mul_f16 v9, v10, 0.5 op_sel_hi:[1,0]
	v_pk_mul_f16 v7, v7, 0.5 op_sel_hi:[1,0]
	s_waitcnt vmcnt(3)
	v_pk_fma_f16 v10, v1, v9, v7 op_sel:[1,0,0]
	v_pk_mul_f16 v11, v1, v9 op_sel_hi:[0,1]
	v_pk_fma_f16 v14, v1, v9, v7 op_sel:[1,0,0] neg_lo:[1,0,0] neg_hi:[1,0,0]
	v_pk_fma_f16 v1, v1, v9, v7 op_sel:[1,0,0] neg_lo:[0,0,1] neg_hi:[0,0,1]
	v_pk_add_f16 v7, v10, v11 op_sel:[0,1] op_sel_hi:[1,0]
	v_pk_add_f16 v9, v10, v11 op_sel:[0,1] op_sel_hi:[1,0] neg_lo:[0,1] neg_hi:[0,1]
	v_pk_add_f16 v10, v14, v11 op_sel:[0,1] op_sel_hi:[1,0] neg_lo:[0,1] neg_hi:[0,1]
	;; [unrolled: 1-line block ×3, first 2 shown]
	v_bfi_b32 v7, s0, v7, v9
	v_bfi_b32 v1, s0, v10, v1
	ds_write_b32 v20, v7
	ds_write_b32 v8, v1 offset:2340
	ds_read_b32 v1, v17 offset:520
	ds_read_b32 v7, v8 offset:2080
	s_waitcnt lgkmcnt(0)
	v_pk_add_f16 v9, v1, v7 neg_lo:[0,1] neg_hi:[0,1]
	v_pk_add_f16 v1, v1, v7
	v_bfi_b32 v7, s0, v9, v1
	v_bfi_b32 v1, s0, v1, v9
	v_pk_mul_f16 v7, v7, 0.5 op_sel_hi:[1,0]
	v_pk_mul_f16 v1, v1, 0.5 op_sel_hi:[1,0]
	s_waitcnt vmcnt(2)
	v_pk_fma_f16 v9, v12, v7, v1 op_sel:[1,0,0]
	v_pk_mul_f16 v10, v12, v7 op_sel_hi:[0,1]
	v_pk_fma_f16 v11, v12, v7, v1 op_sel:[1,0,0] neg_lo:[1,0,0] neg_hi:[1,0,0]
	v_pk_fma_f16 v1, v12, v7, v1 op_sel:[1,0,0] neg_lo:[0,0,1] neg_hi:[0,0,1]
	v_pk_add_f16 v7, v9, v10 op_sel:[0,1] op_sel_hi:[1,0]
	v_pk_add_f16 v9, v9, v10 op_sel:[0,1] op_sel_hi:[1,0] neg_lo:[0,1] neg_hi:[0,1]
	v_pk_add_f16 v11, v11, v10 op_sel:[0,1] op_sel_hi:[1,0] neg_lo:[0,1] neg_hi:[0,1]
	v_pk_add_f16 v1, v1, v10 op_sel:[0,1] op_sel_hi:[1,0] neg_lo:[0,1] neg_hi:[0,1]
	v_bfi_b32 v7, s0, v7, v9
	v_bfi_b32 v1, s0, v11, v1
	ds_write_b32 v17, v7 offset:520
	ds_write_b32 v8, v1 offset:2080
	ds_read_b32 v1, v17 offset:780
	ds_read_b32 v7, v8 offset:1820
	s_waitcnt lgkmcnt(0)
	v_pk_add_f16 v9, v1, v7 neg_lo:[0,1] neg_hi:[0,1]
	v_pk_add_f16 v1, v1, v7
	v_bfi_b32 v7, s0, v9, v1
	v_bfi_b32 v1, s0, v1, v9
	v_pk_mul_f16 v7, v7, 0.5 op_sel_hi:[1,0]
	v_pk_mul_f16 v1, v1, 0.5 op_sel_hi:[1,0]
	s_waitcnt vmcnt(1)
	v_pk_fma_f16 v9, v13, v7, v1 op_sel:[1,0,0]
	v_pk_mul_f16 v10, v13, v7 op_sel_hi:[0,1]
	v_pk_fma_f16 v11, v13, v7, v1 op_sel:[1,0,0] neg_lo:[1,0,0] neg_hi:[1,0,0]
	v_pk_fma_f16 v1, v13, v7, v1 op_sel:[1,0,0] neg_lo:[0,0,1] neg_hi:[0,0,1]
	v_pk_add_f16 v7, v9, v10 op_sel:[0,1] op_sel_hi:[1,0]
	v_pk_add_f16 v9, v9, v10 op_sel:[0,1] op_sel_hi:[1,0] neg_lo:[0,1] neg_hi:[0,1]
	v_pk_add_f16 v11, v11, v10 op_sel:[0,1] op_sel_hi:[1,0] neg_lo:[0,1] neg_hi:[0,1]
	v_pk_add_f16 v1, v1, v10 op_sel:[0,1] op_sel_hi:[1,0] neg_lo:[0,1] neg_hi:[0,1]
	v_bfi_b32 v7, s0, v7, v9
	v_bfi_b32 v1, s0, v11, v1
	ds_write_b32 v17, v7 offset:780
	;; [unrolled: 22-line block ×3, first 2 shown]
	ds_write_b32 v8, v1 offset:1560
	s_waitcnt lgkmcnt(0)
	s_barrier
	s_and_saveexec_b64 s[0:1], vcc
	s_cbranch_execz .LBB0_23
; %bb.21:
	ds_read2_b32 v[6:7], v17 offset1:65
	v_mov_b32_e32 v8, s3
	v_add_co_u32_e32 v1, vcc, s2, v2
	v_addc_co_u32_e32 v2, vcc, v8, v3, vcc
	ds_read2_b32 v[8:9], v17 offset0:130 offset1:195
	v_add_co_u32_e32 v3, vcc, v1, v4
	v_addc_co_u32_e32 v4, vcc, v2, v5, vcc
	s_waitcnt lgkmcnt(1)
	global_store_dword v[3:4], v6, off
	global_store_dword v[3:4], v7, off offset:260
	s_waitcnt lgkmcnt(0)
	global_store_dword v[3:4], v8, off offset:520
	v_add_u32_e32 v7, 0x400, v17
	ds_read2_b32 v[5:6], v7 offset0:4 offset1:69
	ds_read2_b32 v[7:8], v7 offset0:134 offset1:199
	global_store_dword v[3:4], v9, off offset:780
	v_add_u32_e32 v9, 0x800, v17
	ds_read2_b32 v[9:10], v9 offset0:8 offset1:73
	v_cmp_eq_u32_e32 vcc, 64, v0
	s_waitcnt lgkmcnt(2)
	global_store_dword v[3:4], v5, off offset:1040
	global_store_dword v[3:4], v6, off offset:1300
	s_waitcnt lgkmcnt(1)
	global_store_dword v[3:4], v7, off offset:1560
	global_store_dword v[3:4], v8, off offset:1820
	;; [unrolled: 3-line block ×3, first 2 shown]
	s_and_b64 exec, exec, vcc
	s_cbranch_execz .LBB0_23
; %bb.22:
	ds_read_b32 v0, v17 offset:2344
	s_waitcnt lgkmcnt(0)
	global_store_dword v[1:2], v0, off offset:2600
.LBB0_23:
	s_endpgm
	.section	.rodata,"a",@progbits
	.p2align	6, 0x0
	.amdhsa_kernel fft_rtc_fwd_len650_factors_10_5_13_wgs_195_tpt_65_half_ip_CI_unitstride_sbrr_R2C_dirReg
		.amdhsa_group_segment_fixed_size 0
		.amdhsa_private_segment_fixed_size 0
		.amdhsa_kernarg_size 88
		.amdhsa_user_sgpr_count 6
		.amdhsa_user_sgpr_private_segment_buffer 1
		.amdhsa_user_sgpr_dispatch_ptr 0
		.amdhsa_user_sgpr_queue_ptr 0
		.amdhsa_user_sgpr_kernarg_segment_ptr 1
		.amdhsa_user_sgpr_dispatch_id 0
		.amdhsa_user_sgpr_flat_scratch_init 0
		.amdhsa_user_sgpr_private_segment_size 0
		.amdhsa_uses_dynamic_stack 0
		.amdhsa_system_sgpr_private_segment_wavefront_offset 0
		.amdhsa_system_sgpr_workgroup_id_x 1
		.amdhsa_system_sgpr_workgroup_id_y 0
		.amdhsa_system_sgpr_workgroup_id_z 0
		.amdhsa_system_sgpr_workgroup_info 0
		.amdhsa_system_vgpr_workitem_id 0
		.amdhsa_next_free_vgpr 132
		.amdhsa_next_free_sgpr 22
		.amdhsa_reserve_vcc 1
		.amdhsa_reserve_flat_scratch 0
		.amdhsa_float_round_mode_32 0
		.amdhsa_float_round_mode_16_64 0
		.amdhsa_float_denorm_mode_32 3
		.amdhsa_float_denorm_mode_16_64 3
		.amdhsa_dx10_clamp 1
		.amdhsa_ieee_mode 1
		.amdhsa_fp16_overflow 0
		.amdhsa_exception_fp_ieee_invalid_op 0
		.amdhsa_exception_fp_denorm_src 0
		.amdhsa_exception_fp_ieee_div_zero 0
		.amdhsa_exception_fp_ieee_overflow 0
		.amdhsa_exception_fp_ieee_underflow 0
		.amdhsa_exception_fp_ieee_inexact 0
		.amdhsa_exception_int_div_zero 0
	.end_amdhsa_kernel
	.text
.Lfunc_end0:
	.size	fft_rtc_fwd_len650_factors_10_5_13_wgs_195_tpt_65_half_ip_CI_unitstride_sbrr_R2C_dirReg, .Lfunc_end0-fft_rtc_fwd_len650_factors_10_5_13_wgs_195_tpt_65_half_ip_CI_unitstride_sbrr_R2C_dirReg
                                        ; -- End function
	.section	.AMDGPU.csdata,"",@progbits
; Kernel info:
; codeLenInByte = 8716
; NumSgprs: 26
; NumVgprs: 132
; ScratchSize: 0
; MemoryBound: 0
; FloatMode: 240
; IeeeMode: 1
; LDSByteSize: 0 bytes/workgroup (compile time only)
; SGPRBlocks: 3
; VGPRBlocks: 32
; NumSGPRsForWavesPerEU: 26
; NumVGPRsForWavesPerEU: 132
; Occupancy: 1
; WaveLimiterHint : 1
; COMPUTE_PGM_RSRC2:SCRATCH_EN: 0
; COMPUTE_PGM_RSRC2:USER_SGPR: 6
; COMPUTE_PGM_RSRC2:TRAP_HANDLER: 0
; COMPUTE_PGM_RSRC2:TGID_X_EN: 1
; COMPUTE_PGM_RSRC2:TGID_Y_EN: 0
; COMPUTE_PGM_RSRC2:TGID_Z_EN: 0
; COMPUTE_PGM_RSRC2:TIDIG_COMP_CNT: 0
	.type	__hip_cuid_6ac8b80e4b6297f5,@object ; @__hip_cuid_6ac8b80e4b6297f5
	.section	.bss,"aw",@nobits
	.globl	__hip_cuid_6ac8b80e4b6297f5
__hip_cuid_6ac8b80e4b6297f5:
	.byte	0                               ; 0x0
	.size	__hip_cuid_6ac8b80e4b6297f5, 1

	.ident	"AMD clang version 19.0.0git (https://github.com/RadeonOpenCompute/llvm-project roc-6.4.0 25133 c7fe45cf4b819c5991fe208aaa96edf142730f1d)"
	.section	".note.GNU-stack","",@progbits
	.addrsig
	.addrsig_sym __hip_cuid_6ac8b80e4b6297f5
	.amdgpu_metadata
---
amdhsa.kernels:
  - .args:
      - .actual_access:  read_only
        .address_space:  global
        .offset:         0
        .size:           8
        .value_kind:     global_buffer
      - .offset:         8
        .size:           8
        .value_kind:     by_value
      - .actual_access:  read_only
        .address_space:  global
        .offset:         16
        .size:           8
        .value_kind:     global_buffer
      - .actual_access:  read_only
        .address_space:  global
        .offset:         24
        .size:           8
        .value_kind:     global_buffer
      - .offset:         32
        .size:           8
        .value_kind:     by_value
      - .actual_access:  read_only
        .address_space:  global
        .offset:         40
        .size:           8
        .value_kind:     global_buffer
      - .actual_access:  read_only
        .address_space:  global
        .offset:         48
        .size:           8
        .value_kind:     global_buffer
      - .offset:         56
        .size:           4
        .value_kind:     by_value
      - .actual_access:  read_only
        .address_space:  global
        .offset:         64
        .size:           8
        .value_kind:     global_buffer
      - .actual_access:  read_only
        .address_space:  global
        .offset:         72
        .size:           8
        .value_kind:     global_buffer
      - .address_space:  global
        .offset:         80
        .size:           8
        .value_kind:     global_buffer
    .group_segment_fixed_size: 0
    .kernarg_segment_align: 8
    .kernarg_segment_size: 88
    .language:       OpenCL C
    .language_version:
      - 2
      - 0
    .max_flat_workgroup_size: 195
    .name:           fft_rtc_fwd_len650_factors_10_5_13_wgs_195_tpt_65_half_ip_CI_unitstride_sbrr_R2C_dirReg
    .private_segment_fixed_size: 0
    .sgpr_count:     26
    .sgpr_spill_count: 0
    .symbol:         fft_rtc_fwd_len650_factors_10_5_13_wgs_195_tpt_65_half_ip_CI_unitstride_sbrr_R2C_dirReg.kd
    .uniform_work_group_size: 1
    .uses_dynamic_stack: false
    .vgpr_count:     132
    .vgpr_spill_count: 0
    .wavefront_size: 64
amdhsa.target:   amdgcn-amd-amdhsa--gfx906
amdhsa.version:
  - 1
  - 2
...

	.end_amdgpu_metadata
